;; amdgpu-corpus repo=ROCm/rocFFT kind=compiled arch=gfx950 opt=O3
	.text
	.amdgcn_target "amdgcn-amd-amdhsa--gfx950"
	.amdhsa_code_object_version 6
	.protected	fft_rtc_fwd_len100_factors_10_10_wgs_250_tpt_10_dim2_sp_ip_CI_sbcc_twdbase8_2step_dirReg_intrinsicReadWrite ; -- Begin function fft_rtc_fwd_len100_factors_10_10_wgs_250_tpt_10_dim2_sp_ip_CI_sbcc_twdbase8_2step_dirReg_intrinsicReadWrite
	.globl	fft_rtc_fwd_len100_factors_10_10_wgs_250_tpt_10_dim2_sp_ip_CI_sbcc_twdbase8_2step_dirReg_intrinsicReadWrite
	.p2align	8
	.type	fft_rtc_fwd_len100_factors_10_10_wgs_250_tpt_10_dim2_sp_ip_CI_sbcc_twdbase8_2step_dirReg_intrinsicReadWrite,@function
fft_rtc_fwd_len100_factors_10_10_wgs_250_tpt_10_dim2_sp_ip_CI_sbcc_twdbase8_2step_dirReg_intrinsicReadWrite: ; @fft_rtc_fwd_len100_factors_10_10_wgs_250_tpt_10_dim2_sp_ip_CI_sbcc_twdbase8_2step_dirReg_intrinsicReadWrite
; %bb.0:
	s_load_dwordx4 s[4:7], s[0:1], 0x10
	s_mov_b32 s3, 0
	s_waitcnt lgkmcnt(0)
	s_load_dwordx2 s[10:11], s[4:5], 0x8
	s_load_dwordx2 s[8:9], s[0:1], 0x50
	s_nop 0
	s_load_dwordx2 s[4:5], s[6:7], 0x0
	s_waitcnt lgkmcnt(0)
	s_add_u32 s5, s10, -1
	s_addc_u32 s12, s11, -1
	s_add_u32 s13, 0, 0xd7093700
	s_addc_u32 s14, 0, 51
	s_mul_hi_u32 s16, s13, 0xffffffe7
	s_add_i32 s14, s14, 0xa3d7070
	s_sub_i32 s16, s16, s13
	s_mul_i32 s19, s14, 0xffffffe7
	s_mul_i32 s15, s13, 0xffffffe7
	s_add_i32 s16, s16, s19
	s_mul_hi_u32 s17, s14, s15
	s_mul_i32 s18, s14, s15
	s_mul_i32 s20, s13, s16
	s_mul_hi_u32 s15, s13, s15
	s_mul_hi_u32 s19, s13, s16
	s_add_u32 s15, s15, s20
	s_addc_u32 s19, 0, s19
	s_add_u32 s15, s15, s18
	s_mul_hi_u32 s20, s14, s16
	s_addc_u32 s15, s19, s17
	s_addc_u32 s17, s20, 0
	s_mul_i32 s16, s14, s16
	s_add_u32 s15, s15, s16
	v_mov_b32_e32 v1, s15
	s_addc_u32 s16, 0, s17
	v_add_co_u32_e32 v1, vcc, s13, v1
	s_cmp_lg_u64 vcc, 0
	s_addc_u32 s13, s14, s16
	v_readfirstlane_b32 s16, v1
	s_mul_i32 s15, s5, s13
	s_mul_hi_u32 s17, s5, s16
	s_mul_hi_u32 s14, s5, s13
	s_add_u32 s15, s17, s15
	s_addc_u32 s14, 0, s14
	s_mul_hi_u32 s18, s12, s16
	s_mul_i32 s16, s12, s16
	s_add_u32 s15, s15, s16
	s_mul_hi_u32 s17, s12, s13
	s_addc_u32 s14, s14, s18
	s_addc_u32 s15, s17, 0
	s_mul_i32 s13, s12, s13
	s_add_u32 s13, s14, s13
	s_addc_u32 s14, 0, s15
	s_add_u32 s15, s13, 1
	s_addc_u32 s16, s14, 0
	s_add_u32 s17, s13, 2
	s_mul_i32 s19, s14, 25
	s_mul_hi_u32 s20, s13, 25
	s_addc_u32 s18, s14, 0
	s_add_i32 s20, s20, s19
	s_mul_i32 s19, s13, 25
	v_mov_b32_e32 v1, s19
	v_sub_co_u32_e32 v1, vcc, s5, v1
	s_cmp_lg_u64 vcc, 0
	s_subb_u32 s5, s12, s20
	v_subrev_co_u32_e32 v2, vcc, 25, v1
	s_cmp_lg_u64 vcc, 0
	s_subb_u32 s12, s5, 0
	v_readfirstlane_b32 s19, v2
	s_cmp_gt_u32 s19, 24
	s_cselect_b32 s19, -1, 0
	s_cmp_eq_u32 s12, 0
	s_cselect_b32 s12, s19, -1
	s_cmp_lg_u32 s12, 0
	s_cselect_b32 s12, s17, s15
	s_cselect_b32 s15, s18, s16
	v_readfirstlane_b32 s16, v1
	s_cmp_gt_u32 s16, 24
	s_cselect_b32 s16, -1, 0
	s_cmp_eq_u32 s5, 0
	s_cselect_b32 s5, s16, -1
	s_cmp_lg_u32 s5, 0
	s_cselect_b32 s12, s12, s13
	s_cselect_b32 s5, s15, s14
	s_add_u32 s12, s12, 1
	s_addc_u32 s13, s5, 0
	v_mov_b64_e32 v[2:3], s[12:13]
	v_cmp_lt_u64_e32 vcc, s[2:3], v[2:3]
	s_mov_b64 s[14:15], 0
	s_cbranch_vccnz .LBB0_2
; %bb.1:
	v_cvt_f32_u32_e32 v1, s12
	s_sub_i32 s3, 0, s12
	v_rcp_iflag_f32_e32 v1, v1
	s_nop 0
	v_mul_f32_e32 v1, 0x4f7ffffe, v1
	v_cvt_u32_f32_e32 v1, v1
	s_nop 0
	v_readfirstlane_b32 s5, v1
	s_mul_i32 s3, s3, s5
	s_mul_hi_u32 s3, s5, s3
	s_add_i32 s5, s5, s3
	s_mul_hi_u32 s3, s2, s5
	s_mul_i32 s14, s3, s12
	s_sub_i32 s14, s2, s14
	s_add_i32 s5, s3, 1
	s_sub_i32 s15, s14, s12
	s_cmp_ge_u32 s14, s12
	s_cselect_b32 s3, s5, s3
	s_cselect_b32 s14, s15, s14
	s_add_i32 s5, s3, 1
	s_cmp_ge_u32 s14, s12
	s_cselect_b32 s14, s5, s3
.LBB0_2:
	s_mul_i32 s3, s14, s13
	s_mul_hi_u32 s5, s14, s12
	s_load_dwordx4 s[16:19], s[6:7], 0x8
	s_add_i32 s5, s5, s3
	s_mul_i32 s3, s14, s12
	s_sub_u32 s2, s2, s3
	v_mul_u32_u24_e32 v1, 0xa3e, v0
	s_subb_u32 s3, 0, s5
	v_lshrrev_b32_e32 v1, 16, v1
	s_mul_i32 s6, s3, 25
	s_mul_hi_u32 s3, s2, 25
	s_mul_i32 s12, s2, 25
	v_mul_lo_u16_e32 v2, 25, v1
	s_add_i32 s7, s3, s6
	s_waitcnt lgkmcnt(0)
	s_mul_i32 s3, s12, s16
	s_mul_i32 s5, s18, s14
	v_sub_u16_e32 v12, v0, v2
	v_mov_b32_e32 v13, 0
	s_add_u32 s5, s5, s3
	v_mad_u64_u32 v[2:3], s[2:3], s2, 25, v[12:13]
	s_add_u32 s2, s12, 25
	s_addc_u32 s3, s7, 0
	v_mov_b64_e32 v[4:5], s[10:11]
	v_add_u32_e32 v3, s6, v3
	v_cmp_le_u64_e32 vcc, s[2:3], v[4:5]
	v_mad_u64_u32 v[10:11], s[2:3], s16, v12, 0
	v_cmp_gt_u64_e64 s[2:3], s[10:11], v[2:3]
	s_or_b64 s[2:3], vcc, s[2:3]
	v_mov_b32_e32 v4, 0
	v_mov_b32_e32 v5, 0
	s_and_saveexec_b64 s[6:7], s[2:3]
	s_cbranch_execz .LBB0_4
; %bb.3:
	v_mul_lo_u32 v3, s4, v1
	v_add3_u32 v4, s5, v10, v3
	v_mov_b32_e32 v5, v13
	v_lshl_add_u64 v[4:5], v[4:5], 3, s[8:9]
	global_load_dwordx2 v[4:5], v[4:5], off
.LBB0_4:
	s_or_b64 exec, exec, s[6:7]
	v_mov_b32_e32 v7, 0
	s_and_saveexec_b64 s[6:7], s[2:3]
	s_cbranch_execz .LBB0_6
; %bb.5:
	v_add_u32_e32 v3, 10, v1
	v_mul_lo_u32 v3, s4, v3
	v_add3_u32 v6, s5, v10, v3
	v_mov_b32_e32 v7, 0
	v_lshl_add_u64 v[6:7], v[6:7], 3, s[8:9]
	global_load_dwordx2 v[6:7], v[6:7], off
	s_waitcnt vmcnt(0)
	v_mov_b32_e32 v13, v6
.LBB0_6:
	s_or_b64 exec, exec, s[6:7]
	v_mov_b32_e32 v8, 0
	v_mov_b32_e32 v14, 0
	v_mov_b32_e32 v15, 0
	s_and_saveexec_b64 s[6:7], s[2:3]
	s_cbranch_execz .LBB0_8
; %bb.7:
	v_add_u32_e32 v3, 20, v1
	v_mul_lo_u32 v3, s4, v3
	v_add3_u32 v14, s5, v10, v3
	v_mov_b32_e32 v15, 0
	v_lshl_add_u64 v[14:15], v[14:15], 3, s[8:9]
	global_load_dwordx2 v[14:15], v[14:15], off
.LBB0_8:
	s_or_b64 exec, exec, s[6:7]
	v_mov_b32_e32 v9, 0
	s_and_saveexec_b64 s[6:7], s[2:3]
	s_cbranch_execz .LBB0_10
; %bb.9:
	v_add_u32_e32 v3, 30, v1
	v_mul_lo_u32 v3, s4, v3
	v_add3_u32 v8, s5, v10, v3
	v_mov_b32_e32 v9, 0
	v_lshl_add_u64 v[8:9], v[8:9], 3, s[8:9]
	global_load_dwordx2 v[8:9], v[8:9], off
.LBB0_10:
	s_or_b64 exec, exec, s[6:7]
	v_mov_b32_e32 v16, 0
	v_mov_b32_e32 v18, 0
	v_mov_b32_e32 v19, 0
	s_and_saveexec_b64 s[6:7], s[2:3]
	s_cbranch_execz .LBB0_12
; %bb.11:
	v_add_u32_e32 v3, 40, v1
	v_mul_lo_u32 v3, s4, v3
	v_add3_u32 v18, s5, v10, v3
	v_mov_b32_e32 v19, 0
	v_lshl_add_u64 v[18:19], v[18:19], 3, s[8:9]
	global_load_dwordx2 v[18:19], v[18:19], off
.LBB0_12:
	s_or_b64 exec, exec, s[6:7]
	v_mov_b32_e32 v17, 0
	s_and_saveexec_b64 s[6:7], s[2:3]
	s_cbranch_execz .LBB0_14
; %bb.13:
	v_add_u32_e32 v3, 50, v1
	v_mul_lo_u32 v3, s4, v3
	v_add3_u32 v16, s5, v10, v3
	v_mov_b32_e32 v17, 0
	v_lshl_add_u64 v[16:17], v[16:17], 3, s[8:9]
	global_load_dwordx2 v[16:17], v[16:17], off
.LBB0_14:
	;; [unrolled: 26-line block ×3, first 2 shown]
	s_or_b64 exec, exec, s[6:7]
	v_mov_b32_e32 v24, 0
	v_mov_b32_e32 v26, 0
	;; [unrolled: 1-line block ×3, first 2 shown]
	s_and_saveexec_b64 s[6:7], s[2:3]
	s_cbranch_execz .LBB0_20
; %bb.19:
	v_or_b32_e32 v3, 0x50, v1
	v_mul_lo_u32 v3, s4, v3
	v_add3_u32 v26, s5, v10, v3
	v_mov_b32_e32 v27, 0
	v_lshl_add_u64 v[26:27], v[26:27], 3, s[8:9]
	global_load_dwordx2 v[26:27], v[26:27], off
.LBB0_20:
	s_or_b64 exec, exec, s[6:7]
	v_mov_b32_e32 v25, 0
	s_and_saveexec_b64 s[6:7], s[2:3]
	s_cbranch_execz .LBB0_22
; %bb.21:
	v_add_u32_e32 v3, 0x5a, v1
	v_mul_lo_u32 v3, s4, v3
	v_add3_u32 v24, s5, v10, v3
	v_mov_b32_e32 v25, 0
	v_lshl_add_u64 v[24:25], v[24:25], 3, s[8:9]
	global_load_dwordx2 v[24:25], v[24:25], off
.LBB0_22:
	s_or_b64 exec, exec, s[6:7]
	s_waitcnt vmcnt(0)
	v_pk_add_f32 v[34:35], v[18:19], v[22:23]
	v_pk_add_f32 v[36:37], v[14:15], v[26:27] neg_lo:[0,1] neg_hi:[0,1]
	s_mov_b32 s12, 0x3f737871
	v_pk_fma_f32 v[34:35], v[34:35], 0.5, v[4:5] op_sel_hi:[1,0,1] neg_lo:[1,0,0] neg_hi:[1,0,0]
	v_pk_mul_f32 v[38:39], v[36:37], s[12:13] op_sel_hi:[1,0]
	v_pk_add_f32 v[40:41], v[18:19], v[22:23] neg_lo:[0,1] neg_hi:[0,1]
	s_mov_b32 s10, 0x3f167918
	v_pk_add_f32 v[44:45], v[14:15], v[18:19] neg_lo:[0,1] neg_hi:[0,1]
	v_pk_add_f32 v[46:47], v[26:27], v[22:23] neg_lo:[0,1] neg_hi:[0,1]
	v_pk_mul_f32 v[42:43], v[40:41], s[10:11] op_sel_hi:[1,0]
	v_pk_add_f32 v[44:45], v[44:45], v[46:47]
	v_pk_add_f32 v[46:47], v[34:35], v[38:39] op_sel:[0,1] op_sel_hi:[1,0]
	v_mov_b32_e32 v6, v13
	v_pk_add_f32 v[34:35], v[34:35], v[38:39] op_sel:[0,1] op_sel_hi:[1,0] neg_lo:[0,1] neg_hi:[0,1]
	v_pk_add_f32 v[38:39], v[46:47], v[42:43] op_sel:[0,1] op_sel_hi:[1,0]
	v_pk_add_f32 v[46:47], v[16:17], v[20:21]
	v_pk_add_f32 v[48:49], v[8:9], v[24:25] neg_lo:[0,1] neg_hi:[0,1]
	v_pk_fma_f32 v[46:47], v[46:47], 0.5, v[6:7] op_sel_hi:[1,0,1] neg_lo:[1,0,0] neg_hi:[1,0,0]
	v_pk_mul_f32 v[50:51], v[48:49], s[12:13] op_sel_hi:[1,0]
	v_pk_add_f32 v[52:53], v[16:17], v[20:21] neg_lo:[0,1] neg_hi:[0,1]
	v_pk_add_f32 v[56:57], v[8:9], v[16:17] neg_lo:[0,1] neg_hi:[0,1]
	;; [unrolled: 1-line block ×3, first 2 shown]
	v_pk_mul_f32 v[54:55], v[52:53], s[10:11] op_sel_hi:[1,0]
	v_pk_add_f32 v[56:57], v[56:57], v[58:59]
	v_pk_add_f32 v[58:59], v[46:47], v[50:51] op_sel:[0,1] op_sel_hi:[1,0]
	v_pk_add_f32 v[46:47], v[46:47], v[50:51] op_sel:[0,1] op_sel_hi:[1,0] neg_lo:[0,1] neg_hi:[0,1]
	s_movk_i32 s6, 0x7d0
	v_pk_add_f32 v[46:47], v[46:47], v[54:55] op_sel:[0,1] op_sel_hi:[1,0] neg_lo:[0,1] neg_hi:[0,1]
	v_pk_add_f32 v[50:51], v[58:59], v[54:55] op_sel:[0,1] op_sel_hi:[1,0]
	v_mad_u32_u24 v13, v1, s6, 0
	s_mov_b32 s6, 0x3e9e377a
	v_mov_b32_e32 v54, v50
	v_mov_b32_e32 v55, v47
	v_pk_add_f32 v[28:29], v[4:5], v[14:15]
	v_pk_add_f32 v[30:31], v[6:7], v[8:9]
	v_pk_fma_f32 v[54:55], v[56:57], s[6:7], v[54:55] op_sel_hi:[1,0,1]
	v_pk_add_f32 v[28:29], v[28:29], v[18:19]
	v_pk_add_f32 v[30:31], v[30:31], v[16:17]
	v_pk_add_f32 v[34:35], v[34:35], v[42:43] op_sel:[0,1] op_sel_hi:[1,0] neg_lo:[0,1] neg_hi:[0,1]
	v_pk_mul_f32 v[58:59], v[54:55], s[10:11] op_sel_hi:[1,0]
	s_mov_b32 s16, 0x3f4f1bbd
	v_pk_add_f32 v[28:29], v[28:29], v[22:23]
	v_pk_add_f32 v[30:31], v[30:31], v[20:21]
	v_mov_b32_e32 v42, v38
	v_mov_b32_e32 v43, v35
	v_pk_fma_f32 v[60:61], v[54:55], s[16:17], v[58:59] op_sel:[0,0,1] op_sel_hi:[1,0,0]
	v_pk_fma_f32 v[54:55], v[54:55], s[16:17], v[58:59] op_sel:[0,0,1] op_sel_hi:[1,0,0] neg_lo:[0,0,1] neg_hi:[0,0,1]
	v_pk_add_f32 v[28:29], v[28:29], v[26:27]
	v_pk_add_f32 v[30:31], v[30:31], v[24:25]
	v_pk_fma_f32 v[42:43], v[44:45], s[6:7], v[42:43] op_sel_hi:[1,0,1]
	v_mov_b32_e32 v61, v55
	v_lshl_add_u32 v3, v12, 3, v13
	v_pk_add_f32 v[32:33], v[28:29], v[30:31]
	v_pk_add_f32 v[54:55], v[42:43], v[60:61]
	ds_write2_b64 v3, v[32:33], v[54:55] offset1:25
	v_pk_add_f32 v[32:33], v[14:15], v[26:27]
	v_pk_add_f32 v[14:15], v[18:19], v[14:15] neg_lo:[0,1] neg_hi:[0,1]
	v_pk_add_f32 v[18:19], v[22:23], v[26:27] neg_lo:[0,1] neg_hi:[0,1]
	v_pk_fma_f32 v[4:5], v[32:33], 0.5, v[4:5] op_sel_hi:[1,0,1] neg_lo:[1,0,0] neg_hi:[1,0,0]
	v_pk_add_f32 v[14:15], v[14:15], v[18:19]
	v_pk_mul_f32 v[18:19], v[40:41], s[12:13] op_sel_hi:[1,0]
	v_pk_mul_f32 v[22:23], v[36:37], s[10:11] op_sel_hi:[1,0]
	v_pk_add_f32 v[26:27], v[4:5], v[18:19] op_sel:[0,1] op_sel_hi:[1,0] neg_lo:[0,1] neg_hi:[0,1]
	v_pk_add_f32 v[4:5], v[4:5], v[18:19] op_sel:[0,1] op_sel_hi:[1,0]
	v_pk_add_f32 v[18:19], v[26:27], v[22:23] op_sel:[0,1] op_sel_hi:[1,0]
	v_pk_add_f32 v[26:27], v[8:9], v[24:25]
	v_pk_add_f32 v[8:9], v[16:17], v[8:9] neg_lo:[0,1] neg_hi:[0,1]
	v_pk_add_f32 v[16:17], v[20:21], v[24:25] neg_lo:[0,1] neg_hi:[0,1]
	v_pk_fma_f32 v[6:7], v[26:27], 0.5, v[6:7] op_sel_hi:[1,0,1] neg_lo:[1,0,0] neg_hi:[1,0,0]
	v_pk_add_f32 v[8:9], v[8:9], v[16:17]
	v_pk_mul_f32 v[16:17], v[52:53], s[12:13] op_sel_hi:[1,0]
	v_pk_mul_f32 v[24:25], v[48:49], s[10:11] op_sel_hi:[1,0]
	v_pk_add_f32 v[20:21], v[6:7], v[16:17] op_sel:[0,1] op_sel_hi:[1,0] neg_lo:[0,1] neg_hi:[0,1]
	v_pk_add_f32 v[6:7], v[16:17], v[6:7] op_sel:[1,0] op_sel_hi:[0,1]
	v_pk_add_f32 v[20:21], v[24:25], v[20:21] op_sel:[1,0] op_sel_hi:[0,1]
	v_pk_add_f32 v[6:7], v[6:7], v[24:25] op_sel:[0,1] op_sel_hi:[1,0] neg_lo:[0,1] neg_hi:[0,1]
	v_pk_add_f32 v[4:5], v[4:5], v[22:23] op_sel:[0,1] op_sel_hi:[1,0] neg_lo:[0,1] neg_hi:[0,1]
	v_pk_fma_f32 v[16:17], v[8:9], s[6:7], v[6:7] op_sel_hi:[1,0,1]
	v_mov_b32_e32 v7, v21
	v_mov_b32_e32 v22, v18
	;; [unrolled: 1-line block ×3, first 2 shown]
	v_pk_fma_f32 v[6:7], v[8:9], s[6:7], v[6:7] op_sel_hi:[1,0,1]
	v_mov_b32_e32 v5, v19
	v_pk_fma_f32 v[22:23], v[14:15], s[6:7], v[22:23] op_sel_hi:[1,0,1]
	v_pk_fma_f32 v[26:27], v[8:9], s[6:7], v[20:21] op_sel_hi:[1,0,1]
	s_mov_b32 s14, 0xbf737871
	s_mov_b32 s15, s12
	v_pk_mul_f32 v[8:9], v[6:7], s[6:7] op_sel_hi:[1,0]
	v_pk_fma_f32 v[4:5], v[14:15], s[6:7], v[4:5] op_sel_hi:[1,0,1]
	s_mov_b32 s7, s12
	v_pk_fma_f32 v[6:7], v[6:7], s[14:15], v[8:9] op_sel:[0,0,1] op_sel_hi:[1,1,0] neg_lo:[0,0,1] neg_hi:[0,0,1]
	v_pk_mul_f32 v[8:9], v[26:27], s[6:7] op_sel_hi:[0,1]
	s_mov_b32 s13, s6
	v_pk_fma_f32 v[14:15], v[16:17], s[12:13], v[8:9] op_sel:[1,0,0]
	v_pk_fma_f32 v[8:9], v[16:17], s[12:13], v[8:9] op_sel:[1,0,0] neg_lo:[0,0,1] neg_hi:[0,0,1]
	v_pk_add_f32 v[16:17], v[4:5], v[6:7] op_sel:[1,0] op_sel_hi:[0,1]
	v_mov_b32_e32 v15, v9
	v_mov_b32_e32 v47, v51
	v_pk_add_f32 v[8:9], v[22:23], v[14:15]
	v_mov_b32_e32 v18, v17
	v_mov_b32_e32 v19, v16
	v_pk_fma_f32 v[16:17], v[56:57], s[6:7], v[46:47] op_sel_hi:[1,0,1]
	ds_write2_b64 v3, v[8:9], v[18:19] offset0:50 offset1:75
	v_mov_b32_e32 v35, v39
	s_mov_b32 s18, 0xbf167918
	s_mov_b32 s19, s10
	v_pk_mul_f32 v[18:19], v[16:17], s[16:17] op_sel_hi:[1,0]
	v_pk_fma_f32 v[8:9], v[44:45], s[6:7], v[34:35] op_sel_hi:[1,0,1]
	v_pk_fma_f32 v[16:17], v[16:17], s[18:19], v[18:19] op_sel:[0,0,1] op_sel_hi:[1,1,0] neg_lo:[0,0,1] neg_hi:[0,0,1]
	v_pk_add_f32 v[20:21], v[28:29], v[30:31] neg_lo:[0,1] neg_hi:[0,1]
	v_pk_add_f32 v[18:19], v[8:9], v[16:17] op_sel:[0,1] op_sel_hi:[1,0]
	v_pk_add_f32 v[4:5], v[4:5], v[6:7] op_sel:[1,0] op_sel_hi:[0,1] neg_lo:[0,1] neg_hi:[0,1]
	ds_write2_b64 v3, v[18:19], v[20:21] offset0:100 offset1:125
	v_pk_add_f32 v[18:19], v[42:43], v[60:61] neg_lo:[0,1] neg_hi:[0,1]
	v_pk_add_f32 v[14:15], v[22:23], v[14:15] neg_lo:[0,1] neg_hi:[0,1]
	v_mov_b32_e32 v6, v5
	v_mov_b32_e32 v7, v4
	v_pk_add_f32 v[4:5], v[8:9], v[16:17] op_sel:[0,1] op_sel_hi:[1,0] neg_lo:[0,1] neg_hi:[0,1]
	ds_write2_b64 v3, v[18:19], v[14:15] offset0:150 offset1:175
	ds_write2_b64 v3, v[6:7], v[4:5] offset0:200 offset1:225
	s_waitcnt lgkmcnt(0)
	s_barrier
	s_and_saveexec_b64 s[20:21], s[2:3]
	s_cbranch_execz .LBB0_24
; %bb.23:
	v_mul_lo_u16_e32 v3, 26, v1
	v_mov_b32_e32 v4, 10
	v_mul_lo_u16_sdwa v3, v3, v4 dst_sel:DWORD dst_unused:UNUSED_PAD src0_sel:BYTE_1 src1_sel:DWORD
	s_load_dwordx4 s[0:3], s[0:1], 0x0
	v_sub_u16_e32 v3, v1, v3
	v_and_b32_e32 v11, 0xff, v3
	v_add_u32_e32 v3, 0x5a, v11
	v_mul_lo_u32 v3, v2, v3
	v_mov_b32_e32 v4, 3
	v_or_b32_e32 v6, 0x50, v11
	v_lshlrev_b32_sdwa v5, v4, v3 dst_sel:DWORD dst_unused:UNUSED_PAD src0_sel:DWORD src1_sel:BYTE_0
	v_lshlrev_b32_sdwa v3, v4, v3 dst_sel:DWORD dst_unused:UNUSED_PAD src0_sel:DWORD src1_sel:BYTE_1
	v_mul_lo_u32 v6, v2, v6
	v_lshlrev_b32_sdwa v7, v4, v6 dst_sel:DWORD dst_unused:UNUSED_PAD src0_sel:DWORD src1_sel:BYTE_0
	v_lshlrev_b32_sdwa v6, v4, v6 dst_sel:DWORD dst_unused:UNUSED_PAD src0_sel:DWORD src1_sel:BYTE_1
	s_waitcnt lgkmcnt(0)
	global_load_dwordx2 v[14:15], v5, s[2:3]
	global_load_dwordx2 v[18:19], v3, s[2:3] offset:2048
	global_load_dwordx2 v[16:17], v7, s[2:3]
	global_load_dwordx2 v[20:21], v6, s[2:3] offset:2048
	v_add_u32_e32 v3, 0x46, v11
	v_mul_lo_u32 v3, v2, v3
	v_lshlrev_b32_sdwa v5, v4, v3 dst_sel:DWORD dst_unused:UNUSED_PAD src0_sel:DWORD src1_sel:BYTE_0
	v_lshlrev_b32_sdwa v3, v4, v3 dst_sel:DWORD dst_unused:UNUSED_PAD src0_sel:DWORD src1_sel:BYTE_1
	global_load_dwordx2 v[22:23], v5, s[2:3]
	global_load_dwordx2 v[24:25], v3, s[2:3] offset:2048
	v_add_u32_e32 v3, 60, v11
	v_mul_lo_u32 v3, v2, v3
	v_lshlrev_b32_sdwa v5, v4, v3 dst_sel:DWORD dst_unused:UNUSED_PAD src0_sel:DWORD src1_sel:BYTE_0
	v_lshlrev_b32_sdwa v3, v4, v3 dst_sel:DWORD dst_unused:UNUSED_PAD src0_sel:DWORD src1_sel:BYTE_1
	global_load_dwordx2 v[26:27], v5, s[2:3]
	global_load_dwordx2 v[28:29], v3, s[2:3] offset:2048
	v_add_u32_e32 v3, 50, v11
	v_mul_lo_u32 v3, v2, v3
	v_add_u32_e32 v6, 40, v11
	v_lshlrev_b32_sdwa v5, v4, v3 dst_sel:DWORD dst_unused:UNUSED_PAD src0_sel:DWORD src1_sel:BYTE_0
	v_lshlrev_b32_sdwa v3, v4, v3 dst_sel:DWORD dst_unused:UNUSED_PAD src0_sel:DWORD src1_sel:BYTE_1
	v_mul_lo_u32 v6, v2, v6
	v_lshlrev_b32_sdwa v7, v4, v6 dst_sel:DWORD dst_unused:UNUSED_PAD src0_sel:DWORD src1_sel:BYTE_0
	global_load_dwordx2 v[30:31], v5, s[2:3]
	global_load_dwordx2 v[32:33], v3, s[2:3] offset:2048
	v_lshlrev_b32_sdwa v3, v4, v6 dst_sel:DWORD dst_unused:UNUSED_PAD src0_sel:DWORD src1_sel:BYTE_1
	global_load_dwordx2 v[34:35], v7, s[2:3]
	global_load_dwordx2 v[36:37], v3, s[2:3] offset:2048
	v_add_u32_e32 v3, 30, v11
	v_mul_lo_u32 v3, v2, v3
	v_add_u32_e32 v6, 20, v11
	v_lshlrev_b32_sdwa v5, v4, v3 dst_sel:DWORD dst_unused:UNUSED_PAD src0_sel:DWORD src1_sel:BYTE_0
	v_lshlrev_b32_sdwa v3, v4, v3 dst_sel:DWORD dst_unused:UNUSED_PAD src0_sel:DWORD src1_sel:BYTE_1
	v_mul_lo_u32 v6, v2, v6
	v_lshlrev_b32_sdwa v7, v4, v6 dst_sel:DWORD dst_unused:UNUSED_PAD src0_sel:DWORD src1_sel:BYTE_0
	global_load_dwordx2 v[38:39], v5, s[2:3]
	global_load_dwordx2 v[40:41], v3, s[2:3] offset:2048
	v_lshlrev_b32_sdwa v3, v4, v6 dst_sel:DWORD dst_unused:UNUSED_PAD src0_sel:DWORD src1_sel:BYTE_1
	global_load_dwordx2 v[42:43], v7, s[2:3]
	global_load_dwordx2 v[44:45], v3, s[2:3] offset:2048
	v_add_u32_e32 v3, 10, v11
	v_mul_lo_u32 v3, v2, v3
	v_lshlrev_b32_sdwa v5, v4, v3 dst_sel:DWORD dst_unused:UNUSED_PAD src0_sel:DWORD src1_sel:BYTE_0
	v_lshlrev_b32_sdwa v3, v4, v3 dst_sel:DWORD dst_unused:UNUSED_PAD src0_sel:DWORD src1_sel:BYTE_1
	v_mul_lo_u32 v2, v2, v11
	global_load_dwordx2 v[46:47], v5, s[2:3]
	global_load_dwordx2 v[48:49], v3, s[2:3] offset:2048
	v_lshlrev_b32_sdwa v3, v4, v2 dst_sel:DWORD dst_unused:UNUSED_PAD src0_sel:DWORD src1_sel:BYTE_0
	v_lshlrev_b32_sdwa v2, v4, v2 dst_sel:DWORD dst_unused:UNUSED_PAD src0_sel:DWORD src1_sel:BYTE_1
	global_load_dwordx2 v[50:51], v3, s[2:3]
	global_load_dwordx2 v[52:53], v2, s[2:3] offset:2048
	v_mul_u32_u24_e32 v2, 9, v11
	v_lshlrev_b32_e32 v60, 3, v2
	global_load_dwordx4 v[6:9], v60, s[0:1] offset:48
	global_load_dwordx2 v[54:55], v60, s[0:1] offset:64
	global_load_dwordx4 v[2:5], v60, s[0:1] offset:32
	global_load_dwordx4 v[56:59], v60, s[0:1] offset:16
	v_mul_i32_i24_e32 v1, 0xfffff8f8, v1
	global_load_dwordx4 v[60:63], v60, s[0:1]
	v_lshlrev_b32_e32 v12, 3, v12
	v_add3_u32 v1, v13, v1, v12
	v_add_u32_e32 v72, 0x1f40, v1
	s_movk_i32 s0, 0x107
	v_mul_u32_u24_sdwa v0, v0, s0 dst_sel:DWORD dst_unused:UNUSED_PAD src0_sel:WORD_0 src1_sel:DWORD
	s_movk_i32 s0, 0x64
	v_mul_lo_u16_sdwa v0, v0, s0 dst_sel:DWORD dst_unused:UNUSED_PAD src0_sel:WORD_1 src1_sel:DWORD
	s_waitcnt vmcnt(23)
	v_pk_mul_f32 v[64:65], v[14:15], v[18:19] op_sel:[1,0] op_sel_hi:[0,1]
	v_mov_b32_e32 v12, v19
	s_waitcnt vmcnt(21)
	v_mov_b32_e32 v64, v21
	v_pk_mul_f32 v[66:67], v[16:17], v[20:21] op_sel:[1,0] op_sel_hi:[0,1]
	v_pk_mul_f32 v[12:13], v[14:15], v[12:13] op_sel:[1,0] op_sel_hi:[0,1]
	v_mov_b32_e32 v66, v65
	v_pk_mul_f32 v[64:65], v[16:17], v[64:65] op_sel:[1,0] op_sel_hi:[0,1]
	v_mov_b32_e32 v68, v67
	s_waitcnt vmcnt(19)
	v_mul_f32_e32 v73, v23, v25
	v_mul_f32_e32 v80, v22, v25
	v_pk_fma_f32 v[70:71], v[14:15], v[18:19], v[12:13] neg_lo:[0,0,1] neg_hi:[0,0,1]
	v_pk_fma_f32 v[64:65], v[16:17], v[20:21], v[64:65] neg_lo:[0,0,1] neg_hi:[0,0,1]
	v_pk_fma_f32 v[68:69], v[16:17], v[20:21], v[68:69] op_sel:[1,0,0] op_sel_hi:[0,1,1]
	s_waitcnt vmcnt(17)
	v_mul_f32_e32 v12, v27, v29
	v_mul_f32_e32 v83, v26, v29
	v_add_u32_e32 v16, 0x3e80, v1
	v_pk_fma_f32 v[66:67], v[14:15], v[18:19], v[66:67] op_sel:[1,0,0] op_sel_hi:[0,1,1]
	v_fma_f32 v81, v22, v24, -v73
	v_fmac_f32_e32 v80, v23, v24
	v_fma_f32 v82, v26, v28, -v12
	v_fmac_f32_e32 v83, v27, v28
	s_waitcnt vmcnt(15)
	v_mov_b32_e32 v12, v33
	v_pk_mul_f32 v[14:15], v[30:31], v[32:33] op_sel:[1,0] op_sel_hi:[0,1]
	ds_read2_b64 v[24:27], v16 offset1:250
	v_pk_mul_f32 v[12:13], v[30:31], v[12:13] op_sel:[1,0] op_sel_hi:[0,1]
	v_mov_b32_e32 v14, v15
	v_pk_fma_f32 v[12:13], v[30:31], v[32:33], v[12:13] neg_lo:[0,0,1] neg_hi:[0,0,1]
	v_pk_fma_f32 v[14:15], v[30:31], v[32:33], v[14:15] op_sel:[1,0,0] op_sel_hi:[0,1,1]
	s_waitcnt vmcnt(13)
	v_mul_f32_e32 v17, v35, v37
	ds_read2_b64 v[20:23], v72 offset1:250
	s_waitcnt vmcnt(11)
	v_mul_f32_e32 v16, v39, v41
	v_fma_f32 v86, v38, v40, -v16
	v_add_u32_e32 v16, 0x2ec0, v1
	ds_read2_b64 v[28:31], v16 offset0:4 offset1:254
	v_fma_f32 v84, v34, v36, -v17
	s_waitcnt vmcnt(9)
	v_mul_f32_e32 v17, v43, v45
	v_mul_f32_e32 v85, v34, v37
	v_fmac_f32_e32 v85, v35, v36
	s_waitcnt vmcnt(7)
	v_mul_f32_e32 v16, v47, v49
	v_fma_f32 v90, v46, v48, -v16
	v_fma_f32 v88, v42, v44, -v17
	s_waitcnt vmcnt(5)
	v_mul_f32_e32 v16, v51, v53
	v_fma_f32 v92, v50, v52, -v16
	s_waitcnt vmcnt(4)
	v_mov_b32_e32 v16, v9
	s_waitcnt lgkmcnt(2)
	v_pk_mul_f32 v[32:33], v[24:25], v[16:17] op_sel_hi:[1,0]
	s_waitcnt vmcnt(3)
	v_pk_mul_f32 v[18:19], v[26:27], v[54:55] op_sel:[0,1]
	v_mul_f32_e32 v87, v38, v41
	v_pk_fma_f32 v[16:17], v[26:27], v[54:55], v[18:19] op_sel:[1,0,0] op_sel_hi:[0,1,1]
	v_pk_fma_f32 v[34:35], v[26:27], v[54:55], v[18:19] op_sel:[1,0,0] op_sel_hi:[0,0,1] neg_lo:[0,0,1] neg_hi:[0,0,1]
	v_pk_fma_f32 v[18:19], v[24:25], v[8:9], v[32:33] op_sel:[0,0,1] op_sel_hi:[1,1,0] neg_lo:[0,0,1] neg_hi:[0,0,1]
	v_pk_fma_f32 v[32:33], v[24:25], v[8:9], v[32:33] op_sel:[0,0,1] op_sel_hi:[1,0,0]
	s_waitcnt lgkmcnt(0)
	v_pk_mul_f32 v[24:25], v[30:31], v[6:7] op_sel:[0,1]
	v_fmac_f32_e32 v87, v39, v40
	v_pk_fma_f32 v[8:9], v[30:31], v[6:7], v[24:25] op_sel:[1,0,0] op_sel_hi:[0,1,1]
	v_pk_fma_f32 v[36:37], v[30:31], v[6:7], v[24:25] op_sel:[1,0,0] op_sel_hi:[0,0,1] neg_lo:[0,0,1] neg_hi:[0,0,1]
	s_waitcnt vmcnt(2)
	v_mov_b32_e32 v6, v5
	v_pk_mul_f32 v[24:25], v[28:29], v[6:7] op_sel_hi:[1,0]
	v_mov_b32_e32 v17, v35
	v_pk_fma_f32 v[6:7], v[28:29], v[4:5], v[24:25] op_sel:[0,0,1] op_sel_hi:[1,1,0] neg_lo:[0,0,1] neg_hi:[0,0,1]
	v_pk_fma_f32 v[28:29], v[28:29], v[4:5], v[24:25] op_sel:[0,0,1] op_sel_hi:[1,0,0]
	v_pk_mul_f32 v[24:25], v[2:3], v[22:23] op_sel:[0,1]
	v_mov_b32_e32 v7, v29
	v_pk_fma_f32 v[4:5], v[2:3], v[22:23], v[24:25] op_sel:[1,0,0] op_sel_hi:[0,1,1]
	v_pk_fma_f32 v[38:39], v[2:3], v[22:23], v[24:25] op_sel:[1,0,0] op_sel_hi:[0,0,1] neg_lo:[0,0,1] neg_hi:[0,0,1]
	v_add_u32_e32 v3, 0xf80, v1
	ds_read2_b64 v[24:27], v3 offset0:4 offset1:254
	s_waitcnt vmcnt(1)
	v_mov_b32_e32 v2, v59
	v_mov_b32_e32 v3, v58
	v_pk_mul_f32 v[2:3], v[2:3], v[20:21] op_sel:[0,1]
	v_mov_b32_e32 v5, v39
	s_waitcnt lgkmcnt(0)
	v_pk_mul_f32 v[30:31], v[56:57], v[26:27] op_sel:[0,1]
	v_pk_fma_f32 v[22:23], v[58:59], v[20:21], v[2:3] neg_lo:[0,0,1] neg_hi:[0,0,1]
	v_pk_fma_f32 v[20:21], v[58:59], v[20:21], v[2:3] op_sel_hi:[1,0,1]
	v_pk_fma_f32 v[2:3], v[56:57], v[26:27], v[30:31] op_sel:[1,0,0] op_sel_hi:[0,1,1]
	v_pk_fma_f32 v[26:27], v[56:57], v[26:27], v[30:31] op_sel:[1,0,0] op_sel_hi:[0,0,1] neg_lo:[0,0,1] neg_hi:[0,0,1]
	s_waitcnt vmcnt(0)
	v_mov_b32_e32 v30, v63
	v_mov_b32_e32 v31, v62
	v_pk_mul_f32 v[30:31], v[30:31], v[24:25] op_sel:[0,1]
	v_mov_b32_e32 v3, v27
	v_pk_fma_f32 v[40:41], v[62:63], v[24:25], v[30:31] neg_lo:[0,0,1] neg_hi:[0,0,1]
	v_pk_fma_f32 v[24:25], v[62:63], v[24:25], v[30:31] op_sel_hi:[1,0,1]
	ds_read2_b64 v[28:31], v1 offset1:250
	v_mov_b32_e32 v9, v37
	v_mov_b32_e32 v23, v21
	;; [unrolled: 1-line block ×3, first 2 shown]
	v_pk_add_f32 v[20:21], v[2:3], v[4:5] neg_lo:[0,1] neg_hi:[0,1]
	v_pk_add_f32 v[24:25], v[16:17], v[8:9] neg_lo:[0,1] neg_hi:[0,1]
	v_mov_b32_e32 v19, v33
	v_pk_add_f32 v[32:33], v[20:21], v[24:25]
	s_waitcnt lgkmcnt(0)
	v_pk_mul_f32 v[24:25], v[60:61], v[30:31] op_sel:[0,1]
	v_pk_add_f32 v[38:39], v[4:5], v[8:9] neg_lo:[0,1] neg_hi:[0,1]
	v_pk_fma_f32 v[20:21], v[60:61], v[30:31], v[24:25] op_sel:[1,0,0] op_sel_hi:[0,1,1]
	v_pk_fma_f32 v[24:25], v[60:61], v[30:31], v[24:25] op_sel:[1,0,0] op_sel_hi:[0,0,1] neg_lo:[0,0,1] neg_hi:[0,0,1]
	v_mov_b32_e32 v21, v25
	v_pk_add_f32 v[24:25], v[4:5], v[8:9]
	v_pk_add_f32 v[30:31], v[2:3], v[16:17] neg_lo:[0,1] neg_hi:[0,1]
	v_pk_fma_f32 v[24:25], v[24:25], 0.5, v[20:21] op_sel_hi:[1,0,1] neg_lo:[1,0,0] neg_hi:[1,0,0]
	v_mul_f32_e32 v89, v42, v45
	v_pk_fma_f32 v[34:35], v[30:31], s[12:13], v[24:25] op_sel:[1,0,0] op_sel_hi:[0,0,1]
	v_pk_fma_f32 v[36:37], v[30:31], s[12:13], v[24:25] op_sel:[1,0,0] op_sel_hi:[0,0,1] neg_lo:[1,0,0] neg_hi:[1,0,0]
	v_pk_fma_f32 v[24:25], v[38:39], s[10:11], v[34:35] op_sel:[1,0,0] op_sel_hi:[0,0,1]
	v_pk_fma_f32 v[26:27], v[38:39], s[10:11], v[36:37] op_sel:[1,0,0] op_sel_hi:[0,0,1] neg_lo:[1,0,0] neg_hi:[1,0,0]
	v_fmac_f32_e32 v89, v43, v44
	v_mov_b32_e32 v25, v27
	v_pk_add_f32 v[26:27], v[40:41], v[22:23] neg_lo:[0,1] neg_hi:[0,1]
	v_pk_add_f32 v[42:43], v[18:19], v[6:7] neg_lo:[0,1] neg_hi:[0,1]
	v_mul_f32_e32 v91, v46, v49
	v_pk_add_f32 v[42:43], v[26:27], v[42:43]
	v_pk_add_f32 v[26:27], v[22:23], v[6:7]
	v_mul_f32_e32 v93, v50, v53
	v_pk_fma_f32 v[26:27], v[26:27], 0.5, v[28:29] op_sel_hi:[1,0,1] neg_lo:[1,0,0] neg_hi:[1,0,0]
	v_pk_add_f32 v[44:45], v[40:41], v[18:19] neg_lo:[0,1] neg_hi:[0,1]
	v_fmac_f32_e32 v91, v47, v48
	v_fmac_f32_e32 v93, v52, v51
	v_pk_fma_f32 v[46:47], v[44:45], s[12:13], v[26:27] op_sel:[1,0,0] op_sel_hi:[0,0,1] neg_lo:[1,0,0] neg_hi:[1,0,0]
	v_pk_fma_f32 v[48:49], v[44:45], s[12:13], v[26:27] op_sel:[1,0,0] op_sel_hi:[0,0,1]
	v_pk_add_f32 v[50:51], v[22:23], v[6:7] neg_lo:[0,1] neg_hi:[0,1]
	v_pk_fma_f32 v[24:25], v[32:33], s[6:7], v[24:25] op_sel_hi:[1,0,1]
	v_pk_fma_f32 v[46:47], v[50:51], s[10:11], v[46:47] op_sel:[1,0,0] op_sel_hi:[0,0,1] neg_lo:[1,0,0] neg_hi:[1,0,0]
	v_pk_fma_f32 v[26:27], v[50:51], s[10:11], v[48:49] op_sel:[1,0,0] op_sel_hi:[0,0,1]
	v_pk_mul_f32 v[52:53], v[38:39], s[10:11] op_sel:[1,0] op_sel_hi:[0,0]
	v_pk_mul_f32 v[54:55], v[50:51], s[10:11] op_sel:[1,0] op_sel_hi:[0,0]
	s_mov_b32 s11, s18
	v_pk_mul_f32 v[56:57], v[24:25], s[16:17] op_sel_hi:[1,0]
	v_mov_b32_e32 v26, v46
	v_pk_fma_f32 v[56:57], v[24:25], s[10:11], v[56:57] op_sel:[0,0,1] op_sel_hi:[1,1,0] neg_lo:[0,0,1] neg_hi:[0,0,1]
	v_pk_fma_f32 v[58:59], v[42:43], s[6:7], v[26:27] op_sel_hi:[1,0,1]
	v_pk_add_f32 v[62:63], v[8:9], v[16:17] neg_lo:[0,1] neg_hi:[0,1]
	v_pk_add_f32 v[26:27], v[58:59], v[56:57] neg_lo:[0,1] neg_hi:[0,1]
	;; [unrolled: 1-line block ×3, first 2 shown]
	v_pk_mul_f32 v[60:61], v[26:27], v[66:67] op_sel_hi:[1,0]
	v_sub_f32_e32 v1, v36, v52
	v_pk_fma_f32 v[24:25], v[26:27], v[70:71], v[60:61] op_sel:[0,0,1] op_sel_hi:[1,1,0] neg_lo:[0,0,1] neg_hi:[0,0,1]
	v_pk_fma_f32 v[26:27], v[26:27], v[70:71], v[60:61] op_sel:[0,0,1] op_sel_hi:[1,0,0]
	v_pk_add_f32 v[60:61], v[4:5], v[2:3] neg_lo:[0,1] neg_hi:[0,1]
	v_add_f32_e32 v25, v53, v35
	v_pk_add_f32 v[60:61], v[60:61], v[62:63]
	v_pk_add_f32 v[62:63], v[2:3], v[16:17]
	v_pk_add_f32 v[34:35], v[58:59], v[56:57]
	v_pk_fma_f32 v[62:63], v[62:63], 0.5, v[20:21] op_sel_hi:[1,0,1] neg_lo:[1,0,0] neg_hi:[1,0,0]
	v_mul_f32_e32 v36, v35, v85
	v_pk_fma_f32 v[66:67], v[38:39], s[12:13], v[62:63] op_sel:[1,0,0] op_sel_hi:[0,0,1] neg_lo:[1,0,0] neg_hi:[1,0,0]
	v_pk_fma_f32 v[38:39], v[38:39], s[12:13], v[62:63] op_sel:[1,0,0] op_sel_hi:[0,0,1]
	v_pk_fma_f32 v[62:63], v[30:31], s[10:11], v[66:67] op_sel:[1,0,0] op_sel_hi:[0,0,1]
	v_pk_fma_f32 v[70:71], v[30:31], s[10:11], v[38:39] op_sel:[1,0,0] op_sel_hi:[0,0,1] neg_lo:[1,0,0] neg_hi:[1,0,0]
	v_mov_b32_e32 v63, v71
	v_pk_add_f32 v[70:71], v[22:23], v[40:41] neg_lo:[0,1] neg_hi:[0,1]
	v_mul_f32_e32 v37, v34, v85
	v_pk_add_f32 v[70:71], v[70:71], v[72:73]
	v_pk_add_f32 v[72:73], v[40:41], v[18:19]
	v_pk_mul_f32 v[30:31], v[30:31], s[10:11] op_sel:[1,0] op_sel_hi:[0,0]
	v_pk_fma_f32 v[72:73], v[72:73], 0.5, v[28:29] op_sel_hi:[1,0,1] neg_lo:[1,0,0] neg_hi:[1,0,0]
	v_fma_f32 v36, v34, v84, -v36
	v_pk_fma_f32 v[74:75], v[50:51], s[12:13], v[72:73] op_sel:[1,0,0] op_sel_hi:[0,0,1]
	v_pk_fma_f32 v[50:51], v[50:51], s[12:13], v[72:73] op_sel:[1,0,0] op_sel_hi:[0,0,1] neg_lo:[1,0,0] neg_hi:[1,0,0]
	v_fmac_f32_e32 v37, v35, v84
	v_sub_f32_e32 v34, v38, v30
	v_add_f32_e32 v35, v31, v67
	v_pk_mul_f32 v[30:31], v[44:45], s[10:11] op_sel:[1,0] op_sel_hi:[0,0]
	v_add_f32_e32 v38, v30, v50
	v_pk_mul_f32 v[30:31], v[32:33], s[6:7] op_sel_hi:[1,0]
	v_add_f32_e32 v26, v54, v48
	v_add_f32_e32 v25, v31, v25
	;; [unrolled: 1-line block ×3, first 2 shown]
	v_mul_f32_e32 v33, 0xbf167918, v25
	v_pk_mul_f32 v[30:31], v[42:43], s[6:7] op_sel_hi:[1,0]
	v_fmac_f32_e32 v33, 0x3f4f1bbd, v1
	v_mul_f32_e32 v1, 0x3f167918, v1
	v_add_f32_e32 v26, v30, v26
	v_fmac_f32_e32 v1, 0x3f4f1bbd, v25
	v_add_f32_e32 v32, v31, v47
	v_sub_f32_e32 v30, v26, v1
	v_sub_f32_e32 v25, v32, v33
	v_mul_f32_e32 v31, v30, v83
	v_mul_f32_e32 v39, v25, v83
	v_fmac_f32_e32 v31, v25, v82
	v_add_f32_e32 v25, v32, v33
	v_pk_fma_f32 v[62:63], v[60:61], s[6:7], v[62:63] op_sel_hi:[1,0,1]
	v_add_f32_e32 v1, v26, v1
	v_mul_f32_e32 v26, v91, v25
	s_mov_b32 s13, s14
	v_pk_mul_f32 v[72:73], v[62:63], s[6:7] op_sel_hi:[1,0]
	v_mul_f32_e32 v33, v91, v1
	v_fma_f32 v32, v90, v1, -v26
	v_add_u32_e32 v1, v11, v0
	v_add_u32_e32 v0, s5, v10
	v_pk_mul_f32 v[10:11], v[60:61], s[6:7] op_sel_hi:[1,0]
	v_pk_fma_f32 v[62:63], v[62:63], s[12:13], v[72:73] op_sel:[0,0,1] op_sel_hi:[1,1,0] neg_lo:[0,0,1] neg_hi:[0,0,1]
	v_pk_fma_f32 v[72:73], v[44:45], s[10:11], v[74:75] op_sel:[1,0,0] op_sel_hi:[0,0,1] neg_lo:[1,0,0] neg_hi:[1,0,0]
	v_fmac_f32_e32 v33, v90, v25
	v_add_f32_e32 v25, v10, v34
	v_add_f32_e32 v26, v11, v35
	v_mad_u64_u32 v[10:11], s[0:1], s4, v1, v[0:1]
	v_pk_mul_f32 v[34:35], v[70:71], s[6:7] op_sel_hi:[1,0]
	v_pk_fma_f32 v[74:75], v[44:45], s[10:11], v[50:51] op_sel:[1,0,0] op_sel_hi:[0,0,1]
	v_add_f32_e32 v11, v35, v73
	v_add_u32_e32 v35, 10, v1
	v_mov_b32_e32 v74, v72
	v_add_f32_e32 v46, v34, v38
	v_mad_u64_u32 v[34:35], s[0:1], s4, v35, v[0:1]
	v_pk_fma_f32 v[74:75], v[70:71], s[6:7], v[74:75] op_sel_hi:[1,0,1]
	v_mul_f32_e32 v35, 0xbf737871, v26
	v_fma_f32 v30, v30, v82, -v39
	v_fmac_f32_e32 v35, 0x3e9e377a, v25
	v_mul_f32_e32 v25, 0x3f737871, v25
	v_pk_add_f32 v[38:39], v[74:75], v[62:63]
	v_pk_add_f32 v[28:29], v[28:29], v[40:41]
	v_fmac_f32_e32 v25, 0x3e9e377a, v26
	v_mul_f32_e32 v40, v39, v87
	v_mul_f32_e32 v41, v38, v87
	v_fma_f32 v40, v38, v86, -v40
	v_sub_f32_e32 v44, v11, v35
	v_sub_f32_e32 v38, v46, v25
	v_add_f32_e32 v25, v46, v25
	v_pk_add_f32 v[2:3], v[20:21], v[2:3]
	v_add_u32_e32 v26, 20, v1
	v_mul_f32_e32 v42, v44, v80
	v_add_f32_e32 v11, v11, v35
	v_mul_f32_e32 v47, v89, v25
	v_pk_add_f32 v[22:23], v[28:29], v[22:23]
	v_pk_add_f32 v[2:3], v[2:3], v[4:5]
	v_fmac_f32_e32 v41, v39, v86
	v_mul_f32_e32 v39, v38, v80
	v_fma_f32 v38, v38, v81, -v42
	v_mad_u64_u32 v[42:43], s[0:1], s4, v26, v[0:1]
	v_add_u32_e32 v26, 30, v1
	v_mul_f32_e32 v35, v89, v11
	v_fmac_f32_e32 v47, v88, v11
	v_add_u32_e32 v11, 60, v1
	v_pk_add_f32 v[6:7], v[22:23], v[6:7]
	v_pk_add_f32 v[2:3], v[2:3], v[8:9]
	v_fmac_f32_e32 v39, v44, v81
	v_mad_u64_u32 v[44:45], s[0:1], s4, v26, v[0:1]
	v_add_u32_e32 v26, 40, v1
	v_fma_f32 v46, v88, v25, -v35
	v_add_u32_e32 v25, 50, v1
	v_mad_u64_u32 v[28:29], s[0:1], s4, v11, v[0:1]
	v_add_u32_e32 v11, 0x46, v1
	v_pk_add_f32 v[6:7], v[6:7], v[18:19]
	v_pk_add_f32 v[2:3], v[2:3], v[16:17]
	v_pk_add_f32 v[76:77], v[74:75], v[62:63] neg_lo:[0,1] neg_hi:[0,1]
	v_mad_u64_u32 v[48:49], s[0:1], s4, v26, v[0:1]
	v_mad_u64_u32 v[50:51], s[0:1], s4, v25, v[0:1]
	v_mad_u64_u32 v[22:23], s[0:1], s4, v11, v[0:1]
	v_add_u32_e32 v11, 0x50, v1
	v_add_u32_e32 v1, 0x5a, v1
	v_pk_add_f32 v[4:5], v[6:7], v[2:3] op_sel:[0,1] op_sel_hi:[1,0] neg_lo:[0,1] neg_hi:[0,1]
	v_pk_add_f32 v[2:3], v[6:7], v[2:3] op_sel:[0,1] op_sel_hi:[1,0]
	v_pk_mul_f32 v[68:69], v[76:77], v[68:69] op_sel_hi:[1,0]
	v_mad_u64_u32 v[52:53], s[0:1], s4, v11, v[0:1]
	v_mad_u64_u32 v[0:1], s[0:1], s4, v1, v[0:1]
	v_mov_b32_e32 v11, 0
	v_pk_mul_f32 v[8:9], v[4:5], v[14:15] op_sel_hi:[1,0]
	v_mul_f32_e32 v7, v2, v93
	v_pk_fma_f32 v[78:79], v[76:77], v[64:65], v[68:69] op_sel:[0,0,1] op_sel_hi:[1,1,0] neg_lo:[0,0,1] neg_hi:[0,0,1]
	v_pk_fma_f32 v[64:65], v[76:77], v[64:65], v[68:69] op_sel:[0,0,1] op_sel_hi:[1,0,0]
	v_mov_b32_e32 v51, v11
	v_mov_b32_e32 v53, v11
	;; [unrolled: 1-line block ×3, first 2 shown]
	v_pk_fma_f32 v[14:15], v[4:5], v[12:13], v[8:9] op_sel:[0,0,1] op_sel_hi:[1,1,0] neg_lo:[0,0,1] neg_hi:[0,0,1]
	v_pk_fma_f32 v[4:5], v[4:5], v[12:13], v[8:9] op_sel:[0,0,1] op_sel_hi:[1,0,0]
	v_fmac_f32_e32 v7, v3, v92
	v_mul_f32_e32 v3, v3, v93
	v_mov_b32_e32 v35, v11
	v_mov_b32_e32 v43, v11
	;; [unrolled: 1-line block ×6, first 2 shown]
	v_lshl_add_u64 v[10:11], v[10:11], 3, s[8:9]
	v_lshl_add_u64 v[50:51], v[50:51], 3, s[8:9]
	v_lshl_add_u64 v[52:53], v[52:53], 3, s[8:9]
	v_lshl_add_u64 v[0:1], v[0:1], 3, s[8:9]
	v_fma_f32 v6, v2, v92, -v3
	v_mov_b32_e32 v15, v5
	v_mov_b32_e32 v79, v65
	;; [unrolled: 1-line block ×3, first 2 shown]
	v_lshl_add_u64 v[34:35], v[34:35], 3, s[8:9]
	v_lshl_add_u64 v[42:43], v[42:43], 3, s[8:9]
	;; [unrolled: 1-line block ×6, first 2 shown]
	global_store_dwordx2 v[10:11], v[6:7], off
	global_store_dwordx2 v[34:35], v[32:33], off
	;; [unrolled: 1-line block ×10, first 2 shown]
.LBB0_24:
	s_endpgm
	.section	.rodata,"a",@progbits
	.p2align	6, 0x0
	.amdhsa_kernel fft_rtc_fwd_len100_factors_10_10_wgs_250_tpt_10_dim2_sp_ip_CI_sbcc_twdbase8_2step_dirReg_intrinsicReadWrite
		.amdhsa_group_segment_fixed_size 0
		.amdhsa_private_segment_fixed_size 0
		.amdhsa_kernarg_size 88
		.amdhsa_user_sgpr_count 2
		.amdhsa_user_sgpr_dispatch_ptr 0
		.amdhsa_user_sgpr_queue_ptr 0
		.amdhsa_user_sgpr_kernarg_segment_ptr 1
		.amdhsa_user_sgpr_dispatch_id 0
		.amdhsa_user_sgpr_kernarg_preload_length 0
		.amdhsa_user_sgpr_kernarg_preload_offset 0
		.amdhsa_user_sgpr_private_segment_size 0
		.amdhsa_uses_dynamic_stack 0
		.amdhsa_enable_private_segment 0
		.amdhsa_system_sgpr_workgroup_id_x 1
		.amdhsa_system_sgpr_workgroup_id_y 0
		.amdhsa_system_sgpr_workgroup_id_z 0
		.amdhsa_system_sgpr_workgroup_info 0
		.amdhsa_system_vgpr_workitem_id 0
		.amdhsa_next_free_vgpr 94
		.amdhsa_next_free_sgpr 22
		.amdhsa_accum_offset 96
		.amdhsa_reserve_vcc 1
		.amdhsa_float_round_mode_32 0
		.amdhsa_float_round_mode_16_64 0
		.amdhsa_float_denorm_mode_32 3
		.amdhsa_float_denorm_mode_16_64 3
		.amdhsa_dx10_clamp 1
		.amdhsa_ieee_mode 1
		.amdhsa_fp16_overflow 0
		.amdhsa_tg_split 0
		.amdhsa_exception_fp_ieee_invalid_op 0
		.amdhsa_exception_fp_denorm_src 0
		.amdhsa_exception_fp_ieee_div_zero 0
		.amdhsa_exception_fp_ieee_overflow 0
		.amdhsa_exception_fp_ieee_underflow 0
		.amdhsa_exception_fp_ieee_inexact 0
		.amdhsa_exception_int_div_zero 0
	.end_amdhsa_kernel
	.text
.Lfunc_end0:
	.size	fft_rtc_fwd_len100_factors_10_10_wgs_250_tpt_10_dim2_sp_ip_CI_sbcc_twdbase8_2step_dirReg_intrinsicReadWrite, .Lfunc_end0-fft_rtc_fwd_len100_factors_10_10_wgs_250_tpt_10_dim2_sp_ip_CI_sbcc_twdbase8_2step_dirReg_intrinsicReadWrite
                                        ; -- End function
	.section	.AMDGPU.csdata,"",@progbits
; Kernel info:
; codeLenInByte = 4688
; NumSgprs: 28
; NumVgprs: 94
; NumAgprs: 0
; TotalNumVgprs: 94
; ScratchSize: 0
; MemoryBound: 0
; FloatMode: 240
; IeeeMode: 1
; LDSByteSize: 0 bytes/workgroup (compile time only)
; SGPRBlocks: 3
; VGPRBlocks: 11
; NumSGPRsForWavesPerEU: 28
; NumVGPRsForWavesPerEU: 94
; AccumOffset: 96
; Occupancy: 5
; WaveLimiterHint : 1
; COMPUTE_PGM_RSRC2:SCRATCH_EN: 0
; COMPUTE_PGM_RSRC2:USER_SGPR: 2
; COMPUTE_PGM_RSRC2:TRAP_HANDLER: 0
; COMPUTE_PGM_RSRC2:TGID_X_EN: 1
; COMPUTE_PGM_RSRC2:TGID_Y_EN: 0
; COMPUTE_PGM_RSRC2:TGID_Z_EN: 0
; COMPUTE_PGM_RSRC2:TIDIG_COMP_CNT: 0
; COMPUTE_PGM_RSRC3_GFX90A:ACCUM_OFFSET: 23
; COMPUTE_PGM_RSRC3_GFX90A:TG_SPLIT: 0
	.text
	.p2alignl 6, 3212836864
	.fill 256, 4, 3212836864
	.type	__hip_cuid_ba8c704ea3561953,@object ; @__hip_cuid_ba8c704ea3561953
	.section	.bss,"aw",@nobits
	.globl	__hip_cuid_ba8c704ea3561953
__hip_cuid_ba8c704ea3561953:
	.byte	0                               ; 0x0
	.size	__hip_cuid_ba8c704ea3561953, 1

	.ident	"AMD clang version 19.0.0git (https://github.com/RadeonOpenCompute/llvm-project roc-6.4.0 25133 c7fe45cf4b819c5991fe208aaa96edf142730f1d)"
	.section	".note.GNU-stack","",@progbits
	.addrsig
	.addrsig_sym __hip_cuid_ba8c704ea3561953
	.amdgpu_metadata
---
amdhsa.kernels:
  - .agpr_count:     0
    .args:
      - .actual_access:  read_only
        .address_space:  global
        .offset:         0
        .size:           8
        .value_kind:     global_buffer
      - .address_space:  global
        .offset:         8
        .size:           8
        .value_kind:     global_buffer
      - .actual_access:  read_only
        .address_space:  global
        .offset:         16
        .size:           8
        .value_kind:     global_buffer
      - .actual_access:  read_only
        .address_space:  global
        .offset:         24
        .size:           8
        .value_kind:     global_buffer
      - .offset:         32
        .size:           8
        .value_kind:     by_value
      - .actual_access:  read_only
        .address_space:  global
        .offset:         40
        .size:           8
        .value_kind:     global_buffer
      - .actual_access:  read_only
        .address_space:  global
        .offset:         48
        .size:           8
        .value_kind:     global_buffer
      - .offset:         56
        .size:           4
        .value_kind:     by_value
      - .actual_access:  read_only
        .address_space:  global
        .offset:         64
        .size:           8
        .value_kind:     global_buffer
      - .actual_access:  read_only
        .address_space:  global
        .offset:         72
        .size:           8
        .value_kind:     global_buffer
      - .address_space:  global
        .offset:         80
        .size:           8
        .value_kind:     global_buffer
    .group_segment_fixed_size: 0
    .kernarg_segment_align: 8
    .kernarg_segment_size: 88
    .language:       OpenCL C
    .language_version:
      - 2
      - 0
    .max_flat_workgroup_size: 250
    .name:           fft_rtc_fwd_len100_factors_10_10_wgs_250_tpt_10_dim2_sp_ip_CI_sbcc_twdbase8_2step_dirReg_intrinsicReadWrite
    .private_segment_fixed_size: 0
    .sgpr_count:     28
    .sgpr_spill_count: 0
    .symbol:         fft_rtc_fwd_len100_factors_10_10_wgs_250_tpt_10_dim2_sp_ip_CI_sbcc_twdbase8_2step_dirReg_intrinsicReadWrite.kd
    .uniform_work_group_size: 1
    .uses_dynamic_stack: false
    .vgpr_count:     94
    .vgpr_spill_count: 0
    .wavefront_size: 64
amdhsa.target:   amdgcn-amd-amdhsa--gfx950
amdhsa.version:
  - 1
  - 2
...

	.end_amdgpu_metadata
